;; amdgpu-corpus repo=ROCm/rocFFT kind=compiled arch=gfx950 opt=O3
	.text
	.amdgcn_target "amdgcn-amd-amdhsa--gfx950"
	.amdhsa_code_object_version 6
	.protected	fft_rtc_fwd_len3888_factors_16_3_3_3_3_3_wgs_324_tpt_324_halfLds_sp_ip_CI_unitstride_sbrr_dirReg ; -- Begin function fft_rtc_fwd_len3888_factors_16_3_3_3_3_3_wgs_324_tpt_324_halfLds_sp_ip_CI_unitstride_sbrr_dirReg
	.globl	fft_rtc_fwd_len3888_factors_16_3_3_3_3_3_wgs_324_tpt_324_halfLds_sp_ip_CI_unitstride_sbrr_dirReg
	.p2align	8
	.type	fft_rtc_fwd_len3888_factors_16_3_3_3_3_3_wgs_324_tpt_324_halfLds_sp_ip_CI_unitstride_sbrr_dirReg,@function
fft_rtc_fwd_len3888_factors_16_3_3_3_3_3_wgs_324_tpt_324_halfLds_sp_ip_CI_unitstride_sbrr_dirReg: ; @fft_rtc_fwd_len3888_factors_16_3_3_3_3_3_wgs_324_tpt_324_halfLds_sp_ip_CI_unitstride_sbrr_dirReg
; %bb.0:
	s_load_dwordx2 s[8:9], s[0:1], 0x50
	s_load_dwordx4 s[4:7], s[0:1], 0x0
	s_load_dwordx2 s[10:11], s[0:1], 0x18
	v_mul_u32_u24_e32 v1, 0x195, v0
	v_lshrrev_b32_e32 v1, 17, v1
	v_add_u32_e32 v6, s2, v1
	v_mov_b32_e32 v4, 0
	s_waitcnt lgkmcnt(0)
	v_cmp_lt_u64_e64 s[2:3], s[6:7], 2
	v_mov_b32_e32 v7, v4
	s_and_b64 vcc, exec, s[2:3]
	v_mov_b64_e32 v[2:3], 0
	s_cbranch_vccnz .LBB0_8
; %bb.1:
	s_load_dwordx2 s[2:3], s[0:1], 0x10
	s_add_u32 s12, s10, 8
	s_addc_u32 s13, s11, 0
	s_mov_b64 s[14:15], 1
	v_mov_b64_e32 v[2:3], 0
	s_waitcnt lgkmcnt(0)
	s_add_u32 s16, s2, 8
	s_addc_u32 s17, s3, 0
.LBB0_2:                                ; =>This Inner Loop Header: Depth=1
	s_load_dwordx2 s[18:19], s[16:17], 0x0
                                        ; implicit-def: $vgpr8_vgpr9
	s_waitcnt lgkmcnt(0)
	v_or_b32_e32 v5, s19, v7
	v_cmp_ne_u64_e32 vcc, 0, v[4:5]
	s_and_saveexec_b64 s[2:3], vcc
	s_xor_b64 s[20:21], exec, s[2:3]
	s_cbranch_execz .LBB0_4
; %bb.3:                                ;   in Loop: Header=BB0_2 Depth=1
	v_cvt_f32_u32_e32 v1, s18
	v_cvt_f32_u32_e32 v5, s19
	s_sub_u32 s2, 0, s18
	s_subb_u32 s3, 0, s19
	v_fmac_f32_e32 v1, 0x4f800000, v5
	v_rcp_f32_e32 v1, v1
	s_nop 0
	v_mul_f32_e32 v1, 0x5f7ffffc, v1
	v_mul_f32_e32 v5, 0x2f800000, v1
	v_trunc_f32_e32 v5, v5
	v_fmac_f32_e32 v1, 0xcf800000, v5
	v_cvt_u32_f32_e32 v5, v5
	v_cvt_u32_f32_e32 v1, v1
	v_mul_lo_u32 v8, s2, v5
	v_mul_hi_u32 v10, s2, v1
	v_mul_lo_u32 v9, s3, v1
	v_add_u32_e32 v10, v10, v8
	v_mul_lo_u32 v12, s2, v1
	v_add_u32_e32 v13, v10, v9
	v_mul_hi_u32 v8, v1, v12
	v_mul_hi_u32 v11, v1, v13
	v_mul_lo_u32 v10, v1, v13
	v_mov_b32_e32 v9, v4
	v_lshl_add_u64 v[8:9], v[8:9], 0, v[10:11]
	v_mul_hi_u32 v11, v5, v12
	v_mul_lo_u32 v12, v5, v12
	v_add_co_u32_e32 v8, vcc, v8, v12
	v_mul_hi_u32 v10, v5, v13
	s_nop 0
	v_addc_co_u32_e32 v8, vcc, v9, v11, vcc
	v_mov_b32_e32 v9, v4
	s_nop 0
	v_addc_co_u32_e32 v11, vcc, 0, v10, vcc
	v_mul_lo_u32 v10, v5, v13
	v_lshl_add_u64 v[8:9], v[8:9], 0, v[10:11]
	v_add_co_u32_e32 v1, vcc, v1, v8
	v_mul_lo_u32 v10, s2, v1
	s_nop 0
	v_addc_co_u32_e32 v5, vcc, v5, v9, vcc
	v_mul_lo_u32 v8, s2, v5
	v_mul_hi_u32 v9, s2, v1
	v_add_u32_e32 v8, v9, v8
	v_mul_lo_u32 v9, s3, v1
	v_add_u32_e32 v12, v8, v9
	v_mul_hi_u32 v14, v5, v10
	v_mul_lo_u32 v15, v5, v10
	v_mul_hi_u32 v9, v1, v12
	v_mul_lo_u32 v8, v1, v12
	v_mul_hi_u32 v10, v1, v10
	v_mov_b32_e32 v11, v4
	v_lshl_add_u64 v[8:9], v[10:11], 0, v[8:9]
	v_add_co_u32_e32 v8, vcc, v8, v15
	v_mul_hi_u32 v13, v5, v12
	s_nop 0
	v_addc_co_u32_e32 v8, vcc, v9, v14, vcc
	v_mul_lo_u32 v10, v5, v12
	s_nop 0
	v_addc_co_u32_e32 v11, vcc, 0, v13, vcc
	v_mov_b32_e32 v9, v4
	v_lshl_add_u64 v[8:9], v[8:9], 0, v[10:11]
	v_add_co_u32_e32 v1, vcc, v1, v8
	v_mul_hi_u32 v10, v6, v1
	s_nop 0
	v_addc_co_u32_e32 v5, vcc, v5, v9, vcc
	v_mad_u64_u32 v[8:9], s[2:3], v6, v5, 0
	v_mov_b32_e32 v11, v4
	v_lshl_add_u64 v[8:9], v[10:11], 0, v[8:9]
	v_mad_u64_u32 v[12:13], s[2:3], v7, v1, 0
	v_add_co_u32_e32 v1, vcc, v8, v12
	v_mad_u64_u32 v[10:11], s[2:3], v7, v5, 0
	s_nop 0
	v_addc_co_u32_e32 v8, vcc, v9, v13, vcc
	v_mov_b32_e32 v9, v4
	s_nop 0
	v_addc_co_u32_e32 v11, vcc, 0, v11, vcc
	v_lshl_add_u64 v[8:9], v[8:9], 0, v[10:11]
	v_mul_lo_u32 v1, s19, v8
	v_mul_lo_u32 v5, s18, v9
	v_mad_u64_u32 v[10:11], s[2:3], s18, v8, 0
	v_add3_u32 v1, v11, v5, v1
	v_sub_u32_e32 v5, v7, v1
	v_mov_b32_e32 v11, s19
	v_sub_co_u32_e32 v14, vcc, v6, v10
	v_lshl_add_u64 v[12:13], v[8:9], 0, 1
	s_nop 0
	v_subb_co_u32_e64 v5, s[2:3], v5, v11, vcc
	v_subrev_co_u32_e64 v10, s[2:3], s18, v14
	v_subb_co_u32_e32 v1, vcc, v7, v1, vcc
	s_nop 0
	v_subbrev_co_u32_e64 v5, s[2:3], 0, v5, s[2:3]
	v_cmp_le_u32_e64 s[2:3], s19, v5
	v_cmp_le_u32_e32 vcc, s19, v1
	s_nop 0
	v_cndmask_b32_e64 v11, 0, -1, s[2:3]
	v_cmp_le_u32_e64 s[2:3], s18, v10
	s_nop 1
	v_cndmask_b32_e64 v10, 0, -1, s[2:3]
	v_cmp_eq_u32_e64 s[2:3], s19, v5
	s_nop 1
	v_cndmask_b32_e64 v5, v11, v10, s[2:3]
	v_lshl_add_u64 v[10:11], v[8:9], 0, 2
	v_cmp_ne_u32_e64 s[2:3], 0, v5
	s_nop 1
	v_cndmask_b32_e64 v5, v13, v11, s[2:3]
	v_cndmask_b32_e64 v11, 0, -1, vcc
	v_cmp_le_u32_e32 vcc, s18, v14
	s_nop 1
	v_cndmask_b32_e64 v13, 0, -1, vcc
	v_cmp_eq_u32_e32 vcc, s19, v1
	s_nop 1
	v_cndmask_b32_e32 v1, v11, v13, vcc
	v_cmp_ne_u32_e32 vcc, 0, v1
	v_cndmask_b32_e64 v1, v12, v10, s[2:3]
	s_nop 0
	v_cndmask_b32_e32 v9, v9, v5, vcc
	v_cndmask_b32_e32 v8, v8, v1, vcc
.LBB0_4:                                ;   in Loop: Header=BB0_2 Depth=1
	s_andn2_saveexec_b64 s[2:3], s[20:21]
	s_cbranch_execz .LBB0_6
; %bb.5:                                ;   in Loop: Header=BB0_2 Depth=1
	v_cvt_f32_u32_e32 v1, s18
	s_sub_i32 s20, 0, s18
	v_rcp_iflag_f32_e32 v1, v1
	s_nop 0
	v_mul_f32_e32 v1, 0x4f7ffffe, v1
	v_cvt_u32_f32_e32 v1, v1
	v_mul_lo_u32 v5, s20, v1
	v_mul_hi_u32 v5, v1, v5
	v_add_u32_e32 v1, v1, v5
	v_mul_hi_u32 v1, v6, v1
	v_mul_lo_u32 v5, v1, s18
	v_sub_u32_e32 v5, v6, v5
	v_add_u32_e32 v8, 1, v1
	v_subrev_u32_e32 v9, s18, v5
	v_cmp_le_u32_e32 vcc, s18, v5
	s_nop 1
	v_cndmask_b32_e32 v5, v5, v9, vcc
	v_cndmask_b32_e32 v1, v1, v8, vcc
	v_add_u32_e32 v8, 1, v1
	v_cmp_le_u32_e32 vcc, s18, v5
	v_mov_b32_e32 v9, v4
	s_nop 0
	v_cndmask_b32_e32 v8, v1, v8, vcc
.LBB0_6:                                ;   in Loop: Header=BB0_2 Depth=1
	s_or_b64 exec, exec, s[2:3]
	v_mad_u64_u32 v[10:11], s[2:3], v8, s18, 0
	s_load_dwordx2 s[2:3], s[12:13], 0x0
	v_mul_lo_u32 v1, v9, s18
	v_mul_lo_u32 v5, v8, s19
	v_add3_u32 v1, v11, v5, v1
	v_sub_co_u32_e32 v5, vcc, v6, v10
	s_add_u32 s14, s14, 1
	s_nop 0
	v_subb_co_u32_e32 v1, vcc, v7, v1, vcc
	s_addc_u32 s15, s15, 0
	s_waitcnt lgkmcnt(0)
	v_mul_lo_u32 v1, s2, v1
	v_mul_lo_u32 v6, s3, v5
	v_mad_u64_u32 v[2:3], s[2:3], s2, v5, v[2:3]
	s_add_u32 s12, s12, 8
	v_add3_u32 v3, v6, v3, v1
	s_addc_u32 s13, s13, 0
	v_mov_b64_e32 v[6:7], s[6:7]
	s_add_u32 s16, s16, 8
	v_cmp_ge_u64_e32 vcc, s[14:15], v[6:7]
	s_addc_u32 s17, s17, 0
	s_cbranch_vccnz .LBB0_9
; %bb.7:                                ;   in Loop: Header=BB0_2 Depth=1
	v_mov_b64_e32 v[6:7], v[8:9]
	s_branch .LBB0_2
.LBB0_8:
	v_mov_b64_e32 v[8:9], v[6:7]
.LBB0_9:
	s_lshl_b64 s[2:3], s[6:7], 3
	s_add_u32 s2, s10, s2
	s_addc_u32 s3, s11, s3
	s_load_dwordx2 s[6:7], s[2:3], 0x0
	s_load_dwordx2 s[10:11], s[0:1], 0x20
	s_movk_i32 s2, 0xf3
                                        ; implicit-def: $vgpr22
                                        ; implicit-def: $vgpr24
                                        ; implicit-def: $vgpr14
                                        ; implicit-def: $vgpr40
                                        ; implicit-def: $vgpr28
                                        ; implicit-def: $vgpr18
                                        ; implicit-def: $vgpr37
                                        ; implicit-def: $vgpr27
                                        ; implicit-def: $vgpr32
	s_waitcnt lgkmcnt(0)
	v_mul_lo_u32 v1, s6, v9
	v_mul_lo_u32 v4, s7, v8
	v_mad_u64_u32 v[2:3], s[0:1], s6, v8, v[2:3]
	v_add3_u32 v3, v4, v3, v1
	v_mul_hi_u32_u24_e32 v1, 0xca4588, v0
	v_mul_u32_u24_e32 v1, 0x144, v1
	v_sub_u32_e32 v0, v0, v1
	v_cmp_gt_u64_e64 s[0:1], s[10:11], v[8:9]
	v_cmp_gt_u32_e64 s[2:3], s2, v0
	v_mov_b32_e32 v4, 0
	s_and_b64 s[10:11], s[0:1], s[2:3]
	v_lshl_add_u64 v[2:3], v[2:3], 3, s[8:9]
	v_mov_b32_e32 v5, v4
	v_mov_b32_e32 v8, v4
	v_mov_b32_e32 v9, v4
	v_mov_b32_e32 v12, v4
	v_mov_b32_e32 v38, v4
	v_mov_b32_e32 v10, v4
	v_mov_b32_e32 v11, v4
	v_mov_b32_e32 v6, v4
	v_mov_b32_e32 v7, v4
	v_mov_b32_e32 v31, v4
	v_mov_b32_e32 v17, v4
	v_mov_b32_e32 v39, v4
	v_mov_b32_e32 v13, v4
	v_mov_b32_e32 v20, v4
	v_mov_b32_e32 v21, v4
	s_and_saveexec_b64 s[6:7], s[10:11]
	s_cbranch_execz .LBB0_11
; %bb.10:
	v_mov_b32_e32 v1, 0
	v_lshl_add_u64 v[30:31], v[0:1], 3, v[2:3]
	v_add_co_u32_e32 v14, vcc, 0x1000, v30
	s_nop 1
	v_addc_co_u32_e32 v15, vcc, 0, v31, vcc
	v_add_co_u32_e32 v18, vcc, 0x2000, v30
	global_load_dwordx2 v[4:5], v[30:31], off
	global_load_dwordx2 v[8:9], v[30:31], off offset:1944
	global_load_dwordx2 v[12:13], v[30:31], off offset:3888
	;; [unrolled: 1-line block ×3, first 2 shown]
	v_addc_co_u32_e32 v19, vcc, 0, v31, vcc
	v_add_co_u32_e32 v26, vcc, 0x3000, v30
	s_waitcnt vmcnt(1)
	v_mov_b32_e32 v38, v13
	v_addc_co_u32_e32 v27, vcc, 0, v31, vcc
	global_load_dwordx2 v[6:7], v[14:15], off offset:3680
	global_load_dwordx2 v[16:17], v[18:19], off offset:1528
	;; [unrolled: 1-line block ×4, first 2 shown]
	v_add_co_u32_e32 v18, vcc, 0x4000, v30
	s_waitcnt vmcnt(1)
	v_mov_b32_e32 v39, v34
	v_addc_co_u32_e32 v19, vcc, 0, v31, vcc
	v_add_co_u32_e32 v32, vcc, 0x5000, v30
	v_mov_b32_e32 v13, v35
	s_nop 0
	v_addc_co_u32_e32 v33, vcc, 0, v31, vcc
	v_add_co_u32_e32 v36, vcc, 0x6000, v30
	global_load_dwordx2 v[22:23], v[26:27], off offset:3264
	global_load_dwordx2 v[24:25], v[18:19], off offset:1112
	;; [unrolled: 1-line block ×4, first 2 shown]
	v_addc_co_u32_e32 v37, vcc, 0, v31, vcc
	v_add_co_u32_e32 v30, vcc, 0x7000, v30
	global_load_dwordx2 v[18:19], v[32:33], off offset:2848
	global_load_dwordx2 v[26:27], v[36:37], off offset:696
	;; [unrolled: 1-line block ×3, first 2 shown]
	v_addc_co_u32_e32 v31, vcc, 0, v31, vcc
	global_load_dwordx2 v[32:33], v[30:31], off offset:488
	v_mov_b32_e32 v31, v16
	s_waitcnt vmcnt(5)
	v_mov_b32_e32 v40, v15
	s_waitcnt vmcnt(2)
	;; [unrolled: 2-line block ×3, first 2 shown]
	v_mov_b32_e32 v41, v42
	v_mov_b32_e32 v15, v43
.LBB0_11:
	s_or_b64 exec, exec, s[6:7]
	v_pk_add_f32 v[28:29], v[10:11], v[28:29] neg_lo:[0,1] neg_hi:[0,1]
	s_waitcnt vmcnt(0)
	v_pk_add_f32 v[32:33], v[20:21], v[32:33] neg_lo:[0,1] neg_hi:[0,1]
	v_pk_add_f32 v[40:41], v[38:39], v[40:41] neg_lo:[0,1] neg_hi:[0,1]
	v_fma_f32 v20, v20, 2.0, -v32
	v_fma_f32 v21, v21, 2.0, -v33
	v_pk_add_f32 v[48:49], v[28:29], v[32:33] op_sel:[0,1] op_sel_hi:[1,0] neg_lo:[0,1] neg_hi:[0,1]
	v_pk_add_f32 v[32:33], v[28:29], v[32:33] op_sel:[0,1] op_sel_hi:[1,0]
	v_pk_add_f32 v[24:25], v[8:9], v[24:25] neg_lo:[0,1] neg_hi:[0,1]
	v_pk_add_f32 v[46:47], v[12:13], v[14:15] neg_lo:[0,1] neg_hi:[0,1]
	v_add_f32_e32 v30, v9, v9
	v_add_f32_e32 v15, v40, v41
	v_fma_f32 v10, v10, 2.0, -v28
	v_fma_f32 v11, v11, 2.0, -v29
	v_mov_b32_e32 v49, v33
	v_mov_b32_e32 v36, v25
	v_pk_add_f32 v[34:35], v[6:7], v[18:19] neg_lo:[0,1] neg_hi:[0,1]
	v_fma_f32 v44, v38, 2.0, -v40
	v_fma_f32 v19, v40, 2.0, -v15
	v_sub_f32_e32 v38, v10, v20
	v_sub_f32_e32 v40, v11, v21
	v_pk_fma_f32 v[20:21], v[28:29], 2.0, v[48:49] op_sel_hi:[1,0,1] neg_lo:[0,0,1] neg_hi:[0,0,1]
	v_pk_add_f32 v[28:29], v[30:31], v[36:37] neg_lo:[0,1] neg_hi:[0,1]
	v_add_f32_e32 v16, v31, v31
	v_mov_b32_e32 v26, v29
	v_pk_add_f32 v[26:27], v[16:17], v[26:27] neg_lo:[0,1] neg_hi:[0,1]
	s_mov_b32 s6, 0x3f3504f3
	v_fma_f32 v16, v17, 2.0, -v27
	v_mov_b32_e32 v17, v25
	v_pk_add_f32 v[30:31], v[28:29], v[16:17] neg_lo:[0,1] neg_hi:[0,1]
	v_pk_add_f32 v[36:37], v[28:29], v[24:25]
	v_add_f32_e32 v42, v7, v7
	v_fma_f32 v7, v39, 2.0, -v41
	v_fma_f32 v13, v13, 2.0, -v47
	s_mov_b32 s7, 0x3ec3ef15
	v_mul_f32_e32 v39, 0x3f3504f3, v48
	v_mov_b32_e32 v31, v37
	v_fma_f32 v9, v25, 2.0, -v37
	v_fmac_f32_e32 v37, 0x3f3504f3, v33
	v_mov_b32_e32 v36, v30
	v_sub_f32_e32 v14, v44, v13
	v_sub_f32_e32 v13, v46, v47
	v_fma_f32 v10, v10, 2.0, -v38
	v_fma_f32 v11, v11, 2.0, -v40
	v_pk_mul_f32 v[50:51], v[20:21], s[6:7] op_sel_hi:[1,0]
	v_fma_f32 v47, v28, 2.0, -v30
	v_pk_add_f32 v[38:39], v[36:37], v[38:39]
	v_sub_f32_e32 v16, v47, v11
	v_sub_f32_e32 v11, v9, v51
	v_pk_fma_f32 v[36:37], v[30:31], 2.0, v[38:39] op_sel_hi:[1,0,1] neg_lo:[0,0,1] neg_hi:[0,0,1]
	v_fma_f32 v30, v8, 2.0, -v24
	v_mov_b32_e32 v31, v24
	v_fma_f32 v1, v12, 2.0, -v46
	v_add_f32_e32 v45, v50, v11
	v_pk_add_f32 v[26:27], v[30:31], v[26:27] neg_lo:[0,1] neg_hi:[0,1]
	v_sub_f32_e32 v12, v1, v7
	v_fma_f32 v7, v46, 2.0, -v13
	v_fma_f32 v46, v9, 2.0, -v45
	;; [unrolled: 1-line block ×3, first 2 shown]
	v_mov_b32_e32 v9, v50
	v_pk_add_f32 v[24:25], v[30:31], v[30:31]
	v_pk_add_f32 v[8:9], v[30:31], v[8:9] neg_lo:[0,1] neg_hi:[0,1]
	v_mov_b32_e32 v50, v26
	v_mov_b32_e32 v25, v9
	v_mul_f32_e32 v41, 0x3f3504f3, v33
	v_pk_add_f32 v[20:21], v[4:5], v[22:23] neg_lo:[0,1] neg_hi:[0,1]
	v_mov_b32_e32 v43, v6
	v_mov_b32_e32 v22, v35
	;; [unrolled: 1-line block ×3, first 2 shown]
	v_pk_add_f32 v[8:9], v[24:25], v[50:51] neg_lo:[0,1] neg_hi:[0,1]
	v_fmamk_f32 v25, v48, 0x3f3504f3, v27
	v_mov_b32_e32 v24, v26
	v_pk_add_f32 v[22:23], v[42:43], v[22:23] neg_lo:[0,1] neg_hi:[0,1]
	v_pk_add_f32 v[42:43], v[24:25], v[40:41] neg_lo:[0,1] neg_hi:[0,1]
	s_mov_b32 s9, 0x3f6c835e
	v_pk_fma_f32 v[40:41], v[26:27], 2.0, v[42:43] op_sel_hi:[1,0,1] neg_lo:[0,0,1] neg_hi:[0,0,1]
	s_mov_b32 s8, s6
	v_mov_b32_e32 v11, 0x3f6c835e
	v_mul_f32_e32 v7, 0x3f3504f3, v7
	v_mul_f32_e32 v19, 0x3f3504f3, v19
	v_mul_f32_e32 v13, 0x3f3504f3, v13
	v_mul_f32_e32 v15, 0x3f3504f3, v15
	v_pk_mul_f32 v[28:29], v[36:37], s[6:7]
	v_fma_f32 v51, v31, 2.0, -v9
	v_pk_mul_f32 v[32:33], v[40:41], s[8:9]
	v_pk_add_f32 v[30:31], v[8:9], v[10:11] neg_lo:[0,1] neg_hi:[0,1]
	v_pk_mul_f32 v[24:25], v[38:39], s[8:9]
	v_pk_mul_f32 v[26:27], v[42:43], s[6:7]
	s_and_saveexec_b64 s[6:7], s[2:3]
	s_cbranch_execz .LBB0_13
; %bb.12:
	v_fma_f32 v34, v6, 2.0, -v23
	v_fma_f32 v52, v4, 2.0, -v20
	v_mov_b32_e32 v53, v20
	v_pk_add_f32 v[34:35], v[52:53], v[34:35] neg_lo:[0,1] neg_hi:[0,1]
	v_fma_f32 v18, v1, 2.0, -v12
	v_pk_fma_f32 v[52:53], v[52:53], 2.0, v[34:35] op_sel_hi:[1,0,1] neg_lo:[0,0,1] neg_hi:[0,0,1]
	v_add_f32_e32 v55, v35, v13
	v_sub_f32_e32 v57, v53, v7
	v_mov_b32_e32 v56, v52
	v_mov_b32_e32 v54, v34
	v_pk_add_f32 v[56:57], v[56:57], v[18:19] neg_lo:[0,1] neg_hi:[0,1]
	v_pk_add_f32 v[54:55], v[54:55], v[14:15] neg_lo:[0,1] neg_hi:[0,1]
	v_mul_f32_e32 v41, 0x3ec3ef15, v41
	v_pk_fma_f32 v[52:53], v[52:53], 2.0, v[56:57] op_sel_hi:[1,0,1] neg_lo:[0,0,1] neg_hi:[0,0,1]
	v_pk_fma_f32 v[34:35], v[34:35], 2.0, v[54:55] op_sel_hi:[1,0,1] neg_lo:[0,0,1] neg_hi:[0,0,1]
	v_mov_b32_e32 v40, v32
	v_mul_f32_e32 v37, 0x3f6c835e, v37
	v_mul_f32_e32 v49, 0x3ec3ef15, v46
	v_fma_f32 v48, v8, 2.0, -v30
	v_fmamk_f32 v61, v51, 0xbf6c835e, v53
	v_mov_b32_e32 v60, v52
	v_pk_add_f32 v[40:41], v[34:35], v[40:41] neg_lo:[0,1] neg_hi:[0,1]
	v_mov_b32_e32 v36, v28
	v_mul_f32_e32 v43, 0x3f6c835e, v43
	v_pk_add_f32 v[48:49], v[60:61], v[48:49] neg_lo:[0,1] neg_hi:[0,1]
	v_pk_add_f32 v[36:37], v[40:41], v[36:37] neg_lo:[0,1] neg_hi:[0,1]
	v_mov_b32_e32 v42, v26
	v_mul_f32_e32 v39, 0x3ec3ef15, v39
	v_mul_f32_e32 v17, 0x3f6c835e, v45
	v_lshl_add_u32 v1, v0, 6, 0
	v_fmamk_f32 v59, v9, 0x3ec3ef15, v57
	v_pk_fma_f32 v[52:53], v[52:53], 2.0, v[48:49] op_sel_hi:[1,0,1] neg_lo:[0,0,1] neg_hi:[0,0,1]
	v_pk_fma_f32 v[34:35], v[34:35], 2.0, v[36:37] op_sel_hi:[1,0,1] neg_lo:[0,0,1] neg_hi:[0,0,1]
	v_mov_b32_e32 v58, v56
	v_pk_add_f32 v[42:43], v[54:55], v[42:43]
	v_mov_b32_e32 v38, v24
	ds_write2_b64 v1, v[52:53], v[34:35] offset1:1
	v_pk_add_f32 v[34:35], v[58:59], v[16:17] neg_lo:[0,1] neg_hi:[0,1]
	v_pk_add_f32 v[38:39], v[42:43], v[38:39] neg_lo:[0,1] neg_hi:[0,1]
	v_pk_fma_f32 v[40:41], v[56:57], 2.0, v[34:35] op_sel_hi:[1,0,1] neg_lo:[0,0,1] neg_hi:[0,0,1]
	v_pk_fma_f32 v[42:43], v[54:55], 2.0, v[38:39] op_sel_hi:[1,0,1] neg_lo:[0,0,1] neg_hi:[0,0,1]
	ds_write2_b64 v1, v[40:41], v[42:43] offset0:2 offset1:3
	ds_write2_b64 v1, v[48:49], v[36:37] offset0:4 offset1:5
	;; [unrolled: 1-line block ×3, first 2 shown]
.LBB0_13:
	s_or_b64 exec, exec, s[6:7]
	v_lshl_add_u32 v1, v0, 2, 0
	s_waitcnt lgkmcnt(0)
	s_barrier
	ds_read_b32 v4, v1
	ds_read_b32 v39, v1 offset:11664
	ds_read_b32 v40, v1 offset:6480
	;; [unrolled: 1-line block ×7, first 2 shown]
	v_add_u32_e32 v36, 0x3cc, v0
	v_add_u32_e32 v35, 0x288, v0
	v_lshl_add_u32 v34, v36, 2, 0
	v_lshl_add_u32 v17, v35, 2, 0
	ds_read_b32 v43, v1 offset:12960
	ds_read_b32 v18, v34
	ds_read_b32 v38, v17
	ds_read_b32 v48, v1 offset:14256
	s_waitcnt lgkmcnt(0)
	s_barrier
	s_and_saveexec_b64 s[6:7], s[2:3]
	s_cbranch_execz .LBB0_15
; %bb.14:
	v_fma_f32 v52, v5, 2.0, -v21
	v_mov_b32_e32 v53, v21
	v_pk_add_f32 v[54:55], v[52:53], v[22:23] neg_lo:[0,1] neg_hi:[0,1]
	v_pk_add_f32 v[20:21], v[20:21], v[22:23]
	v_fma_f32 v6, v44, 2.0, -v14
	v_mov_b32_e32 v55, v21
	v_pk_fma_f32 v[22:23], v[52:53], 2.0, v[54:55] op_sel_hi:[1,0,1] neg_lo:[0,0,1] neg_hi:[0,0,1]
	v_add_f32_e32 v15, v21, v15
	v_sub_f32_e32 v53, v23, v19
	v_mov_b32_e32 v52, v22
	v_pk_add_f32 v[56:57], v[22:23], v[6:7] neg_lo:[0,1] neg_hi:[0,1]
	v_pk_add_f32 v[6:7], v[52:53], v[6:7]
	v_mov_b32_e32 v14, v54
	v_mov_b32_e32 v57, v7
	v_pk_fma_f32 v[22:23], v[22:23], 2.0, v[56:57] op_sel_hi:[1,0,1] neg_lo:[0,0,1] neg_hi:[0,0,1]
	v_pk_add_f32 v[12:13], v[14:15], v[12:13]
	v_fma_f32 v20, v47, 2.0, -v16
	v_pk_fma_f32 v[14:15], v[54:55], 2.0, v[12:13] op_sel_hi:[1,0,1] neg_lo:[0,0,1] neg_hi:[0,0,1]
	v_fmamk_f32 v47, v46, 0xbf6c835e, v23
	v_mov_b32_e32 v46, v22
	v_mul_f32_e32 v21, 0x3ec3ef15, v51
	v_pk_add_f32 v[28:29], v[14:15], v[28:29] neg_lo:[0,1] neg_hi:[0,1]
	v_fmac_f32_e32 v7, 0x3ec3ef15, v45
	v_pk_add_f32 v[44:45], v[22:23], v[20:21] neg_lo:[0,1] neg_hi:[0,1]
	v_pk_add_f32 v[20:21], v[46:47], v[20:21]
	v_pk_mul_f32 v[8:9], v[8:9], v[10:11]
	v_mov_b32_e32 v45, v21
	v_pk_add_f32 v[28:29], v[32:33], v[28:29]
	v_mov_b32_e32 v31, v9
	v_mov_b32_e32 v6, v56
	v_pk_add_f32 v[10:11], v[12:13], v[24:25]
	v_pk_fma_f32 v[22:23], v[22:23], 2.0, v[44:45] op_sel_hi:[1,0,1] neg_lo:[0,0,1] neg_hi:[0,0,1]
	v_pk_fma_f32 v[14:15], v[14:15], 2.0, v[28:29] op_sel_hi:[1,0,1] neg_lo:[0,0,1] neg_hi:[0,0,1]
	v_pk_add_f32 v[6:7], v[6:7], v[30:31]
	v_pk_add_f32 v[10:11], v[26:27], v[10:11]
	v_mad_u32_u24 v5, v0, 60, v1
	v_pk_fma_f32 v[8:9], v[56:57], 2.0, v[6:7] op_sel_hi:[1,0,1] neg_lo:[0,0,1] neg_hi:[0,0,1]
	v_pk_fma_f32 v[12:13], v[12:13], 2.0, v[10:11] op_sel_hi:[1,0,1] neg_lo:[0,0,1] neg_hi:[0,0,1]
	ds_write2_b64 v5, v[22:23], v[14:15] offset1:1
	ds_write2_b64 v5, v[8:9], v[12:13] offset0:2 offset1:3
	ds_write2_b64 v5, v[44:45], v[28:29] offset0:4 offset1:5
	;; [unrolled: 1-line block ×3, first 2 shown]
.LBB0_15:
	s_or_b64 exec, exec, s[6:7]
	v_and_b32_e32 v5, 15, v0
	v_lshlrev_b32_e32 v6, 4, v5
	s_waitcnt lgkmcnt(0)
	s_barrier
	global_load_dwordx4 v[8:11], v6, s[4:5]
	v_and_b32_e32 v6, 15, v35
	v_lshlrev_b32_e32 v7, 4, v6
	v_and_b32_e32 v16, 15, v36
	global_load_dwordx4 v[12:15], v7, s[4:5]
	v_lshlrev_b32_e32 v7, 4, v16
	global_load_dwordx4 v[20:23], v7, s[4:5]
	v_add_u32_e32 v7, 0x144, v0
	v_and_b32_e32 v19, 15, v7
	v_lshlrev_b32_e32 v24, 4, v19
	global_load_dwordx4 v[24:27], v24, s[4:5]
	ds_read_b32 v28, v1
	ds_read_b32 v29, v1 offset:11664
	ds_read_b32 v30, v1 offset:6480
	ds_read_b32 v31, v1 offset:7776
	ds_read_b32 v32, v1 offset:10368
	ds_read_b32 v33, v1 offset:9072
	ds_read_b32 v44, v1 offset:5184
	ds_read_b32 v45, v1 offset:1296
	ds_read_b32 v46, v1 offset:12960
	ds_read_b32 v47, v34
	ds_read_b32 v51, v17
	ds_read_b32 v52, v1 offset:14256
	s_waitcnt lgkmcnt(0)
	s_barrier
	s_mov_b32 s2, 0xaaab
	s_movk_i32 s3, 0x240
	s_waitcnt vmcnt(3)
	v_mul_f32_e32 v53, v44, v9
	v_mul_f32_e32 v9, v50, v9
	;; [unrolled: 1-line block ×4, first 2 shown]
	s_waitcnt vmcnt(2)
	v_mul_f32_e32 v55, v31, v13
	v_mul_f32_e32 v13, v41, v13
	;; [unrolled: 1-line block ×4, first 2 shown]
	v_fma_f32 v50, v50, v8, -v53
	s_waitcnt vmcnt(1)
	v_mul_f32_e32 v53, v33, v21
	v_fmac_f32_e32 v9, v44, v8
	v_mul_f32_e32 v8, v42, v21
	v_fma_f32 v21, v49, v10, -v54
	v_mul_f32_e32 v44, v52, v23
	v_fmac_f32_e32 v11, v32, v10
	v_mul_f32_e32 v10, v48, v23
	s_waitcnt vmcnt(0)
	v_mul_f32_e32 v23, v30, v25
	v_mul_f32_e32 v25, v40, v25
	;; [unrolled: 1-line block ×4, first 2 shown]
	v_fma_f32 v41, v41, v12, -v55
	v_fmac_f32_e32 v13, v31, v12
	v_fma_f32 v12, v43, v14, -v56
	v_fmac_f32_e32 v15, v46, v14
	;; [unrolled: 2-line block ×5, first 2 shown]
	v_fma_f32 v23, v39, v26, -v32
	v_add_f32_e32 v24, v4, v50
	v_fmac_f32_e32 v27, v29, v26
	v_add_f32_e32 v26, v50, v21
	v_sub_f32_e32 v29, v9, v11
	v_add_f32_e32 v30, v28, v9
	v_add_f32_e32 v9, v9, v11
	v_sub_f32_e32 v31, v50, v21
	v_add_f32_e32 v21, v24, v21
	v_add_f32_e32 v24, v22, v23
	v_fmac_f32_e32 v4, -0.5, v26
	v_add_f32_e32 v11, v30, v11
	v_fmac_f32_e32 v28, -0.5, v9
	v_add_f32_e32 v9, v37, v22
	v_sub_f32_e32 v26, v25, v27
	v_add_f32_e32 v30, v45, v25
	v_add_f32_e32 v25, v25, v27
	v_fmac_f32_e32 v37, -0.5, v24
	v_sub_f32_e32 v22, v22, v23
	v_fmac_f32_e32 v45, -0.5, v25
	v_fmamk_f32 v24, v26, 0x3f5db3d7, v37
	v_fmac_f32_e32 v37, 0xbf5db3d7, v26
	v_add_f32_e32 v26, v41, v12
	v_fmamk_f32 v25, v22, 0xbf5db3d7, v45
	v_fmac_f32_e32 v45, 0x3f5db3d7, v22
	v_add_f32_e32 v22, v38, v41
	v_fmac_f32_e32 v38, -0.5, v26
	v_sub_f32_e32 v26, v13, v15
	v_add_f32_e32 v9, v9, v23
	v_add_f32_e32 v23, v30, v27
	v_fmamk_f32 v27, v26, 0x3f5db3d7, v38
	v_fmac_f32_e32 v38, 0xbf5db3d7, v26
	v_add_f32_e32 v26, v51, v13
	v_add_f32_e32 v13, v13, v15
	;; [unrolled: 1-line block ×4, first 2 shown]
	v_fmac_f32_e32 v51, -0.5, v13
	v_sub_f32_e32 v12, v41, v12
	v_add_f32_e32 v15, v14, v20
	v_fmamk_f32 v13, v12, 0xbf5db3d7, v51
	v_fmac_f32_e32 v51, 0x3f5db3d7, v12
	v_add_f32_e32 v12, v18, v14
	v_fmac_f32_e32 v18, -0.5, v15
	v_sub_f32_e32 v15, v8, v10
	v_fmamk_f32 v30, v15, 0x3f5db3d7, v18
	v_fmac_f32_e32 v18, 0xbf5db3d7, v15
	v_add_f32_e32 v15, v47, v8
	v_add_f32_e32 v8, v8, v10
	v_fmac_f32_e32 v47, -0.5, v8
	v_sub_f32_e32 v8, v14, v20
	v_add_f32_e32 v15, v15, v10
	v_fmamk_f32 v10, v8, 0xbf5db3d7, v47
	v_fmac_f32_e32 v47, 0x3f5db3d7, v8
	v_lshrrev_b32_e32 v8, 4, v0
	v_mul_u32_u24_e32 v8, 48, v8
	v_or_b32_e32 v5, v8, v5
	v_lshrrev_b32_e32 v8, 4, v35
	v_fmamk_f32 v32, v29, 0x3f5db3d7, v4
	v_fmac_f32_e32 v4, 0xbf5db3d7, v29
	v_lshl_add_u32 v5, v5, 2, 0
	v_mul_u32_u24_e32 v8, 48, v8
	ds_write2_b32 v5, v21, v32 offset1:16
	ds_write_b32 v5, v4 offset:128
	v_lshrrev_b32_e32 v4, 4, v7
	v_or_b32_e32 v6, v8, v6
	v_lshrrev_b32_e32 v8, 4, v36
	v_mul_u32_u24_e32 v4, 48, v4
	v_mul_u32_u24_e32 v8, 48, v8
	v_or_b32_e32 v4, v4, v19
	v_or_b32_e32 v8, v8, v16
	v_fmamk_f32 v29, v31, 0xbf5db3d7, v28
	v_add_f32_e32 v12, v12, v20
	v_lshl_add_u32 v4, v4, 2, 0
	v_lshl_add_u32 v6, v6, 2, 0
	;; [unrolled: 1-line block ×3, first 2 shown]
	v_fmac_f32_e32 v28, 0x3f5db3d7, v31
	ds_write2_b32 v4, v9, v24 offset1:16
	ds_write_b32 v4, v37 offset:128
	ds_write2_b32 v6, v22, v27 offset1:16
	ds_write_b32 v6, v38 offset:128
	;; [unrolled: 2-line block ×3, first 2 shown]
	s_waitcnt lgkmcnt(0)
	s_barrier
	ds_read_b32 v16, v1
	ds_read_b32 v27, v1 offset:11664
	ds_read_b32 v30, v1 offset:6480
	;; [unrolled: 1-line block ×8, first 2 shown]
	ds_read_b32 v40, v34
	ds_read_b32 v41, v17
	ds_read_b32 v42, v1 offset:14256
	s_waitcnt lgkmcnt(0)
	s_barrier
	ds_write2_b32 v5, v11, v29 offset1:16
	ds_write_b32 v5, v28 offset:128
	ds_write2_b32 v4, v23, v25 offset1:16
	ds_write_b32 v4, v45 offset:128
	;; [unrolled: 2-line block ×4, first 2 shown]
	v_mul_u32_u24_sdwa v4, v0, s2 dst_sel:DWORD dst_unused:UNUSED_PAD src0_sel:WORD_0 src1_sel:DWORD
	v_mul_u32_u24_sdwa v18, v35, s2 dst_sel:DWORD dst_unused:UNUSED_PAD src0_sel:WORD_0 src1_sel:DWORD
	v_lshrrev_b32_e32 v4, 21, v4
	v_lshrrev_b32_e32 v28, 21, v18
	v_mul_lo_u16_e32 v5, 48, v4
	v_mul_lo_u16_e32 v18, 48, v28
	v_sub_u16_e32 v5, v0, v5
	v_sub_u16_e32 v29, v35, v18
	v_lshlrev_b32_e32 v6, 4, v5
	v_lshlrev_b32_e32 v18, 4, v29
	s_waitcnt lgkmcnt(0)
	s_barrier
	global_load_dwordx4 v[8:11], v6, s[4:5] offset:256
	v_mul_u32_u24_sdwa v22, v36, s2 dst_sel:DWORD dst_unused:UNUSED_PAD src0_sel:WORD_0 src1_sel:DWORD
	global_load_dwordx4 v[18:21], v18, s[4:5] offset:256
	v_mul_u32_u24_sdwa v6, v7, s2 dst_sel:DWORD dst_unused:UNUSED_PAD src0_sel:WORD_0 src1_sel:DWORD
	v_lshrrev_b32_e32 v6, 21, v6
	v_mul_lo_u16_e32 v12, 48, v6
	v_sub_u16_e32 v26, v7, v12
	v_lshlrev_b32_e32 v12, 4, v26
	global_load_dwordx4 v[12:15], v12, s[4:5] offset:256
	v_lshrrev_b32_e32 v43, 21, v22
	v_mul_lo_u16_e32 v22, 48, v43
	v_sub_u16_e32 v44, v36, v22
	v_lshlrev_b32_e32 v22, 4, v44
	global_load_dwordx4 v[22:25], v22, s[4:5] offset:256
	ds_read_b32 v45, v1
	ds_read_b32 v46, v1 offset:11664
	ds_read_b32 v47, v1 offset:6480
	ds_read_b32 v48, v1 offset:7776
	ds_read_b32 v49, v1 offset:10368
	ds_read_b32 v50, v1 offset:9072
	ds_read_b32 v51, v1 offset:5184
	ds_read_b32 v52, v1 offset:1296
	ds_read_b32 v53, v1 offset:12960
	ds_read_b32 v54, v34
	ds_read_b32 v55, v17
	ds_read_b32 v56, v1 offset:14256
	s_mov_b32 s2, 0x5040100
	v_perm_b32 v4, v6, v4, s2
	v_pk_mul_lo_u16 v4, v4, s3 op_sel_hi:[1,0]
	v_lshlrev_b32_e32 v5, 2, v5
	v_and_b32_e32 v6, 0xffc0, v4
	v_add3_u32 v5, 0, v6, v5
	v_lshrrev_b32_e32 v4, 16, v4
	v_lshlrev_b32_e32 v6, 2, v26
	v_add3_u32 v4, 0, v4, v6
	v_perm_b32 v6, v43, v28, s2
	v_pk_mul_lo_u16 v6, v6, s3 op_sel_hi:[1,0]
	s_waitcnt lgkmcnt(0)
	s_barrier
	s_mov_b32 s3, 0xe38f
	s_waitcnt vmcnt(3)
	v_mul_f32_e32 v57, v51, v9
	v_mul_f32_e32 v9, v37, v9
	v_fma_f32 v57, v37, v8, -v57
	v_fmac_f32_e32 v9, v51, v8
	v_mul_f32_e32 v8, v49, v11
	v_mul_f32_e32 v11, v32, v11
	v_fma_f32 v8, v32, v10, -v8
	v_fmac_f32_e32 v11, v49, v10
	s_waitcnt vmcnt(1)
	v_mul_f32_e32 v10, v47, v13
	v_mul_f32_e32 v13, v30, v13
	v_fma_f32 v10, v30, v12, -v10
	v_fmac_f32_e32 v13, v47, v12
	v_mul_f32_e32 v12, v46, v15
	v_mul_f32_e32 v15, v27, v15
	v_fma_f32 v12, v27, v14, -v12
	v_fmac_f32_e32 v15, v46, v14
	;; [unrolled: 4-line block ×4, first 2 shown]
	s_waitcnt vmcnt(0)
	v_mul_f32_e32 v20, v50, v23
	v_mul_f32_e32 v23, v33, v23
	v_fma_f32 v20, v33, v22, -v20
	v_fmac_f32_e32 v23, v50, v22
	v_mul_f32_e32 v22, v56, v25
	v_mul_f32_e32 v25, v42, v25
	v_add_f32_e32 v27, v57, v8
	v_fma_f32 v22, v42, v24, -v22
	v_fmac_f32_e32 v25, v56, v24
	v_add_f32_e32 v24, v16, v57
	v_fmac_f32_e32 v16, -0.5, v27
	v_sub_f32_e32 v27, v9, v11
	v_fmamk_f32 v30, v27, 0x3f5db3d7, v16
	v_fmac_f32_e32 v16, 0xbf5db3d7, v27
	v_add_f32_e32 v27, v45, v9
	v_add_f32_e32 v9, v9, v11
	;; [unrolled: 1-line block ×4, first 2 shown]
	v_fmac_f32_e32 v45, -0.5, v9
	v_sub_f32_e32 v8, v57, v8
	v_add_f32_e32 v11, v10, v12
	v_fmamk_f32 v9, v8, 0xbf5db3d7, v45
	v_fmac_f32_e32 v45, 0x3f5db3d7, v8
	v_add_f32_e32 v8, v38, v10
	v_fmac_f32_e32 v38, -0.5, v11
	v_sub_f32_e32 v11, v13, v15
	v_fmamk_f32 v31, v11, 0x3f5db3d7, v38
	v_fmac_f32_e32 v38, 0xbf5db3d7, v11
	v_add_f32_e32 v11, v52, v13
	v_add_f32_e32 v13, v13, v15
	v_fmac_f32_e32 v52, -0.5, v13
	v_sub_f32_e32 v10, v10, v12
	v_add_f32_e32 v13, v14, v18
	v_add_f32_e32 v8, v8, v12
	v_fmamk_f32 v12, v10, 0xbf5db3d7, v52
	v_fmac_f32_e32 v52, 0x3f5db3d7, v10
	v_add_f32_e32 v10, v41, v14
	v_fmac_f32_e32 v41, -0.5, v13
	v_sub_f32_e32 v13, v19, v21
	v_add_f32_e32 v11, v11, v15
	v_fmamk_f32 v15, v13, 0x3f5db3d7, v41
	v_fmac_f32_e32 v41, 0xbf5db3d7, v13
	v_add_f32_e32 v13, v55, v19
	v_add_f32_e32 v19, v19, v21
	v_fmac_f32_e32 v55, -0.5, v19
	v_sub_f32_e32 v14, v14, v18
	v_add_f32_e32 v19, v20, v22
	ds_write2_b32 v5, v24, v30 offset1:48
	ds_write_b32 v5, v16 offset:384
	ds_write2_b32 v4, v8, v31 offset1:48
	ds_write_b32 v4, v38 offset:384
	v_and_b32_e32 v8, 0xffc0, v6
	v_lshlrev_b32_e32 v16, 2, v29
	v_add_f32_e32 v10, v10, v18
	v_fmamk_f32 v18, v14, 0xbf5db3d7, v55
	v_fmac_f32_e32 v55, 0x3f5db3d7, v14
	v_add_f32_e32 v14, v40, v20
	v_fmac_f32_e32 v40, -0.5, v19
	v_sub_f32_e32 v19, v23, v25
	v_add3_u32 v8, 0, v8, v16
	v_add_f32_e32 v13, v13, v21
	v_fmamk_f32 v21, v19, 0x3f5db3d7, v40
	v_fmac_f32_e32 v40, 0xbf5db3d7, v19
	v_add_f32_e32 v19, v54, v23
	v_add_f32_e32 v23, v23, v25
	ds_write2_b32 v8, v10, v15 offset1:48
	ds_write_b32 v8, v41 offset:384
	v_lshrrev_b32_e32 v6, 16, v6
	v_lshlrev_b32_e32 v10, 2, v44
	v_add_f32_e32 v14, v14, v22
	v_fmac_f32_e32 v54, -0.5, v23
	v_sub_f32_e32 v20, v20, v22
	v_add3_u32 v6, 0, v6, v10
	v_add_f32_e32 v19, v19, v25
	v_fmamk_f32 v22, v20, 0xbf5db3d7, v54
	v_fmac_f32_e32 v54, 0x3f5db3d7, v20
	ds_write2_b32 v6, v14, v21 offset1:48
	ds_write_b32 v6, v40 offset:384
	s_waitcnt lgkmcnt(0)
	s_barrier
	ds_read_b32 v16, v1
	ds_read_b32 v26, v1 offset:11664
	ds_read_b32 v28, v1 offset:6480
	;; [unrolled: 1-line block ×8, first 2 shown]
	ds_read_b32 v38, v34
	ds_read_b32 v39, v17
	ds_read_b32 v40, v1 offset:14256
	s_waitcnt lgkmcnt(0)
	s_barrier
	ds_write2_b32 v5, v27, v9 offset1:48
	ds_write_b32 v5, v45 offset:384
	ds_write2_b32 v4, v11, v12 offset1:48
	ds_write_b32 v4, v52 offset:384
	;; [unrolled: 2-line block ×4, first 2 shown]
	v_mul_u32_u24_sdwa v4, v0, s3 dst_sel:DWORD dst_unused:UNUSED_PAD src0_sel:WORD_0 src1_sel:DWORD
	v_mul_u32_u24_sdwa v18, v35, s3 dst_sel:DWORD dst_unused:UNUSED_PAD src0_sel:WORD_0 src1_sel:DWORD
	v_lshrrev_b32_e32 v4, 23, v4
	v_lshrrev_b32_e32 v41, 23, v18
	v_mul_lo_u16_e32 v5, 0x90, v4
	v_mul_lo_u16_e32 v18, 0x90, v41
	v_sub_u16_e32 v5, v0, v5
	v_sub_u16_e32 v42, v35, v18
	v_lshlrev_b32_e32 v6, 4, v5
	v_lshlrev_b32_e32 v18, 4, v42
	s_waitcnt lgkmcnt(0)
	s_barrier
	global_load_dwordx4 v[8:11], v6, s[4:5] offset:1024
	v_mul_u32_u24_sdwa v22, v36, s3 dst_sel:DWORD dst_unused:UNUSED_PAD src0_sel:WORD_0 src1_sel:DWORD
	global_load_dwordx4 v[18:21], v18, s[4:5] offset:1024
	v_mul_u32_u24_sdwa v6, v7, s3 dst_sel:DWORD dst_unused:UNUSED_PAD src0_sel:WORD_0 src1_sel:DWORD
	v_lshrrev_b32_e32 v6, 23, v6
	v_mul_lo_u16_e32 v12, 0x90, v6
	v_sub_u16_e32 v27, v7, v12
	v_lshlrev_b32_e32 v12, 4, v27
	global_load_dwordx4 v[12:15], v12, s[4:5] offset:1024
	v_lshrrev_b32_e32 v43, 23, v22
	v_mul_lo_u16_e32 v22, 0x90, v43
	v_sub_u16_e32 v44, v36, v22
	v_lshlrev_b32_e32 v22, 4, v44
	global_load_dwordx4 v[22:25], v22, s[4:5] offset:1024
	ds_read_b32 v45, v1
	ds_read_b32 v46, v1 offset:11664
	ds_read_b32 v47, v1 offset:6480
	;; [unrolled: 1-line block ×8, first 2 shown]
	ds_read_b32 v54, v34
	ds_read_b32 v55, v17
	ds_read_b32 v56, v1 offset:14256
	v_perm_b32 v4, v6, v4, s2
	s_movk_i32 s3, 0x6c0
	v_pk_mul_lo_u16 v4, v4, s3 op_sel_hi:[1,0]
	v_lshlrev_b32_e32 v5, 2, v5
	v_and_b32_e32 v6, 0xffc0, v4
	v_add3_u32 v5, 0, v6, v5
	v_lshrrev_b32_e32 v4, 16, v4
	v_lshlrev_b32_e32 v6, 2, v27
	v_add3_u32 v4, 0, v4, v6
	v_perm_b32 v6, v43, v41, s2
	v_pk_mul_lo_u16 v6, v6, s3 op_sel_hi:[1,0]
	s_waitcnt lgkmcnt(0)
	s_barrier
	s_movk_i32 s2, 0x6c
	v_cmp_gt_u32_e32 vcc, s2, v0
	s_movk_i32 s3, 0x6b
	s_mov_b32 s2, 0x3f5db3d7
	s_waitcnt vmcnt(3)
	v_mul_f32_e32 v57, v51, v9
	v_mul_f32_e32 v9, v32, v9
	v_fma_f32 v57, v32, v8, -v57
	v_fmac_f32_e32 v9, v51, v8
	v_mul_f32_e32 v8, v49, v11
	v_mul_f32_e32 v11, v30, v11
	v_fma_f32 v8, v30, v10, -v8
	v_fmac_f32_e32 v11, v49, v10
	s_waitcnt vmcnt(1)
	v_mul_f32_e32 v10, v47, v13
	v_mul_f32_e32 v13, v28, v13
	v_fma_f32 v10, v28, v12, -v10
	v_fmac_f32_e32 v13, v47, v12
	v_mul_f32_e32 v12, v46, v15
	v_mul_f32_e32 v15, v26, v15
	v_fma_f32 v12, v26, v14, -v12
	v_fmac_f32_e32 v15, v46, v14
	;; [unrolled: 4-line block ×4, first 2 shown]
	s_waitcnt vmcnt(0)
	v_mul_f32_e32 v20, v50, v23
	v_mul_f32_e32 v23, v31, v23
	v_fma_f32 v20, v31, v22, -v20
	v_fmac_f32_e32 v23, v50, v22
	v_mul_f32_e32 v22, v56, v25
	v_mul_f32_e32 v25, v40, v25
	v_add_f32_e32 v26, v57, v8
	v_fma_f32 v22, v40, v24, -v22
	v_fmac_f32_e32 v25, v56, v24
	v_add_f32_e32 v24, v16, v57
	v_fmac_f32_e32 v16, -0.5, v26
	v_sub_f32_e32 v26, v9, v11
	v_fmamk_f32 v28, v26, 0x3f5db3d7, v16
	v_fmac_f32_e32 v16, 0xbf5db3d7, v26
	v_add_f32_e32 v26, v45, v9
	v_add_f32_e32 v9, v9, v11
	;; [unrolled: 1-line block ×4, first 2 shown]
	v_fmac_f32_e32 v45, -0.5, v9
	v_sub_f32_e32 v8, v57, v8
	v_add_f32_e32 v11, v10, v12
	v_fmamk_f32 v9, v8, 0xbf5db3d7, v45
	v_fmac_f32_e32 v45, 0x3f5db3d7, v8
	v_add_f32_e32 v8, v33, v10
	v_fmac_f32_e32 v33, -0.5, v11
	v_sub_f32_e32 v11, v13, v15
	v_fmamk_f32 v29, v11, 0x3f5db3d7, v33
	v_fmac_f32_e32 v33, 0xbf5db3d7, v11
	v_add_f32_e32 v11, v52, v13
	v_add_f32_e32 v13, v13, v15
	v_fmac_f32_e32 v52, -0.5, v13
	v_sub_f32_e32 v10, v10, v12
	v_add_f32_e32 v13, v14, v18
	v_add_f32_e32 v8, v8, v12
	v_fmamk_f32 v12, v10, 0xbf5db3d7, v52
	v_fmac_f32_e32 v52, 0x3f5db3d7, v10
	v_add_f32_e32 v10, v39, v14
	v_fmac_f32_e32 v39, -0.5, v13
	v_sub_f32_e32 v13, v19, v21
	v_add_f32_e32 v11, v11, v15
	v_fmamk_f32 v15, v13, 0x3f5db3d7, v39
	v_fmac_f32_e32 v39, 0xbf5db3d7, v13
	v_add_f32_e32 v13, v55, v19
	v_add_f32_e32 v19, v19, v21
	v_fmac_f32_e32 v55, -0.5, v19
	v_sub_f32_e32 v14, v14, v18
	v_add_f32_e32 v19, v20, v22
	ds_write2_b32 v5, v24, v28 offset1:144
	ds_write_b32 v5, v16 offset:1152
	ds_write2_b32 v4, v8, v29 offset1:144
	ds_write_b32 v4, v33 offset:1152
	v_and_b32_e32 v8, 0xffc0, v6
	v_lshlrev_b32_e32 v16, 2, v42
	v_add_f32_e32 v10, v10, v18
	v_fmamk_f32 v18, v14, 0xbf5db3d7, v55
	v_fmac_f32_e32 v55, 0x3f5db3d7, v14
	v_add_f32_e32 v14, v38, v20
	v_fmac_f32_e32 v38, -0.5, v19
	v_sub_f32_e32 v19, v23, v25
	v_add3_u32 v8, 0, v8, v16
	v_add_f32_e32 v13, v13, v21
	v_fmamk_f32 v21, v19, 0x3f5db3d7, v38
	v_fmac_f32_e32 v38, 0xbf5db3d7, v19
	v_add_f32_e32 v19, v54, v23
	v_add_f32_e32 v23, v23, v25
	ds_write2_b32 v8, v10, v15 offset1:144
	ds_write_b32 v8, v39 offset:1152
	v_lshrrev_b32_e32 v6, 16, v6
	v_lshlrev_b32_e32 v10, 2, v44
	v_add_f32_e32 v14, v14, v22
	v_fmac_f32_e32 v54, -0.5, v23
	v_sub_f32_e32 v20, v20, v22
	v_add3_u32 v6, 0, v6, v10
	v_add_f32_e32 v19, v19, v25
	v_fmamk_f32 v22, v20, 0xbf5db3d7, v54
	v_fmac_f32_e32 v54, 0x3f5db3d7, v20
	ds_write2_b32 v6, v14, v21 offset1:144
	ds_write_b32 v6, v38 offset:1152
	s_waitcnt lgkmcnt(0)
	s_barrier
	ds_read_b32 v16, v1
	ds_read_b32 v28, v1 offset:11664
	ds_read_b32 v29, v1 offset:6480
	;; [unrolled: 1-line block ×8, first 2 shown]
	ds_read_b32 v39, v34
	ds_read_b32 v40, v17
	ds_read_b32 v41, v1 offset:14256
	s_waitcnt lgkmcnt(0)
	s_barrier
	ds_write2_b32 v5, v26, v9 offset1:144
	ds_write_b32 v5, v45 offset:1152
	ds_write2_b32 v4, v11, v12 offset1:144
	ds_write_b32 v4, v52 offset:1152
	;; [unrolled: 2-line block ×4, first 2 shown]
	v_lshlrev_b32_e32 v4, 1, v0
	v_mov_b32_e32 v5, 0
	v_lshl_add_u64 v[22:23], v[4:5], 3, s[4:5]
	v_add_u32_e32 v4, 0xffffff94, v0
	v_cndmask_b32_e32 v6, v4, v7, vcc
	v_lshlrev_b32_e32 v4, 1, v6
	v_lshl_add_u64 v[12:13], v[4:5], 3, s[4:5]
	v_lshrrev_b16_e32 v4, 4, v35
	v_mul_u32_u24_e32 v4, 0x12f7, v4
	s_waitcnt lgkmcnt(0)
	s_barrier
	global_load_dwordx4 v[8:11], v[22:23], off offset:3328
	v_lshrrev_b32_e32 v4, 17, v4
	global_load_dwordx4 v[12:15], v[12:13], off offset:3328
	v_lshrrev_b16_e32 v24, 4, v36
	v_mul_lo_u16_e32 v18, 0x1b0, v4
	v_mul_u32_u24_e32 v24, 0x12f7, v24
	v_sub_u16_e32 v42, v35, v18
	v_lshrrev_b32_e32 v24, 17, v24
	v_lshlrev_b32_e32 v18, 4, v42
	v_mul_lo_u16_e32 v24, 0x1b0, v24
	global_load_dwordx4 v[18:21], v18, s[4:5] offset:3328
	v_sub_u16_e32 v43, v36, v24
	v_lshlrev_b32_e32 v24, 4, v43
	global_load_dwordx4 v[24:27], v24, s[4:5] offset:3328
	ds_read_b32 v44, v1
	ds_read_b32 v45, v1 offset:11664
	ds_read_b32 v46, v1 offset:6480
	;; [unrolled: 1-line block ×8, first 2 shown]
	ds_read_b32 v53, v34
	ds_read_b32 v54, v17
	ds_read_b32 v55, v1 offset:14256
	v_cmp_lt_u32_e32 vcc, s3, v0
	v_lshlrev_b32_e32 v6, 2, v6
	v_mul_u32_u24_e32 v4, 0x1440, v4
	s_waitcnt lgkmcnt(0)
	s_barrier
	s_waitcnt vmcnt(3)
	v_mul_f32_e32 v56, v50, v9
	v_mul_f32_e32 v9, v33, v9
	v_fma_f32 v56, v33, v8, -v56
	v_fmac_f32_e32 v9, v50, v8
	v_mul_f32_e32 v8, v48, v11
	v_mul_f32_e32 v11, v31, v11
	v_fma_f32 v8, v31, v10, -v8
	v_fmac_f32_e32 v11, v48, v10
	s_waitcnt vmcnt(2)
	v_mul_f32_e32 v10, v46, v13
	v_mul_f32_e32 v13, v29, v13
	v_fma_f32 v10, v29, v12, -v10
	v_fmac_f32_e32 v13, v46, v12
	v_mul_f32_e32 v12, v45, v15
	v_mul_f32_e32 v15, v28, v15
	v_fma_f32 v12, v28, v14, -v12
	v_fmac_f32_e32 v15, v45, v14
	;; [unrolled: 9-line block ×3, first 2 shown]
	s_waitcnt vmcnt(0)
	v_mul_f32_e32 v20, v49, v25
	v_mul_f32_e32 v25, v32, v25
	v_fma_f32 v20, v32, v24, -v20
	v_fmac_f32_e32 v25, v49, v24
	v_mul_f32_e32 v24, v55, v27
	v_mul_f32_e32 v27, v41, v27
	v_add_f32_e32 v28, v56, v8
	v_fma_f32 v24, v41, v26, -v24
	v_fmac_f32_e32 v27, v55, v26
	v_add_f32_e32 v26, v16, v56
	v_fmac_f32_e32 v16, -0.5, v28
	v_sub_f32_e32 v28, v9, v11
	v_fmamk_f32 v29, v28, 0x3f5db3d7, v16
	v_fmac_f32_e32 v16, 0xbf5db3d7, v28
	v_add_f32_e32 v28, v44, v9
	v_add_f32_e32 v9, v9, v11
	;; [unrolled: 1-line block ×4, first 2 shown]
	v_fmac_f32_e32 v44, -0.5, v9
	v_sub_f32_e32 v8, v56, v8
	v_add_f32_e32 v11, v10, v12
	v_fmamk_f32 v9, v8, 0xbf5db3d7, v44
	v_fmac_f32_e32 v44, 0x3f5db3d7, v8
	v_add_f32_e32 v8, v37, v10
	v_fmac_f32_e32 v37, -0.5, v11
	v_sub_f32_e32 v11, v13, v15
	v_fmamk_f32 v28, v11, 0x3f5db3d7, v37
	v_fmac_f32_e32 v37, 0xbf5db3d7, v11
	v_add_f32_e32 v11, v51, v13
	v_add_f32_e32 v13, v13, v15
	;; [unrolled: 1-line block ×3, first 2 shown]
	v_fmac_f32_e32 v51, -0.5, v13
	v_sub_f32_e32 v10, v10, v12
	v_add_f32_e32 v12, v14, v18
	v_fmamk_f32 v13, v10, 0xbf5db3d7, v51
	v_fmac_f32_e32 v51, 0x3f5db3d7, v10
	v_add_f32_e32 v10, v40, v14
	v_fmac_f32_e32 v40, -0.5, v12
	v_sub_f32_e32 v12, v19, v21
	v_add_f32_e32 v11, v11, v15
	v_fmamk_f32 v15, v12, 0x3f5db3d7, v40
	v_fmac_f32_e32 v40, 0xbf5db3d7, v12
	v_add_f32_e32 v12, v54, v19
	v_add_f32_e32 v32, v12, v21
	;; [unrolled: 1-line block ×3, first 2 shown]
	v_fmac_f32_e32 v54, -0.5, v12
	v_sub_f32_e32 v12, v14, v18
	v_add_f32_e32 v14, v20, v24
	v_fmamk_f32 v19, v12, 0xbf5db3d7, v54
	v_fmac_f32_e32 v54, 0x3f5db3d7, v12
	v_add_f32_e32 v12, v39, v20
	v_fmac_f32_e32 v39, -0.5, v14
	v_sub_f32_e32 v14, v25, v27
	v_add_f32_e32 v10, v10, v18
	v_fmamk_f32 v18, v14, 0x3f5db3d7, v39
	v_fmac_f32_e32 v39, 0xbf5db3d7, v14
	v_add_f32_e32 v14, v53, v25
	v_add_f32_e32 v21, v14, v27
	;; [unrolled: 1-line block ×3, first 2 shown]
	v_fmac_f32_e32 v53, -0.5, v14
	v_sub_f32_e32 v14, v20, v24
	v_fmamk_f32 v25, v14, 0xbf5db3d7, v53
	v_fmac_f32_e32 v53, 0x3f5db3d7, v14
	v_mov_b32_e32 v14, 0x1440
	v_cndmask_b32_e32 v14, 0, v14, vcc
	v_add3_u32 v27, 0, v14, v6
	v_lshlrev_b32_e32 v6, 2, v42
	v_add3_u32 v4, 0, v4, v6
	v_add_f32_e32 v12, v12, v24
	ds_write_b32 v1, v26
	ds_write_b32 v1, v29 offset:1728
	ds_write_b32 v1, v16 offset:3456
	ds_write_b32 v27, v8
	ds_write_b32 v27, v28 offset:1728
	ds_write_b32 v27, v37 offset:3456
	;; [unrolled: 3-line block ×3, first 2 shown]
	v_lshl_add_u32 v15, v43, 2, 0
	ds_write_b32 v15, v12 offset:10368
	ds_write_b32 v15, v18 offset:12096
	ds_write_b32 v15, v39 offset:13824
	s_waitcnt lgkmcnt(0)
	s_barrier
	ds_read_b32 v20, v1
	ds_read_b32 v24, v1 offset:11664
	ds_read_b32 v26, v1 offset:6480
	;; [unrolled: 1-line block ×8, first 2 shown]
	ds_read_b32 v6, v34
	ds_read_b32 v12, v17
	ds_read_b32 v8, v1 offset:14256
	s_waitcnt lgkmcnt(0)
	s_barrier
	ds_write_b32 v1, v31
	ds_write_b32 v1, v9 offset:1728
	ds_write_b32 v1, v44 offset:3456
	ds_write_b32 v27, v11
	ds_write_b32 v27, v13 offset:1728
	ds_write_b32 v27, v51 offset:3456
	;; [unrolled: 3-line block ×3, first 2 shown]
	ds_write_b32 v15, v21 offset:10368
	ds_write_b32 v15, v25 offset:12096
	;; [unrolled: 1-line block ×3, first 2 shown]
	s_waitcnt lgkmcnt(0)
	s_barrier
	s_and_saveexec_b64 s[6:7], s[0:1]
	s_cbranch_execz .LBB0_17
; %bb.16:
	s_movk_i32 s0, 0x2000
	v_add_co_u32_e32 v22, vcc, s0, v22
	v_lshlrev_b32_e32 v4, 1, v36
	s_nop 0
	v_addc_co_u32_e32 v23, vcc, 0, v23, vcc
	global_load_dwordx4 v[38:41], v[22:23], off offset:2048
	v_lshl_add_u64 v[22:23], v[4:5], 3, s[4:5]
	v_lshlrev_b32_e32 v4, 1, v35
	v_lshl_add_u64 v[32:33], v[4:5], 3, s[4:5]
	v_lshlrev_b32_e32 v4, 1, v7
	v_lshl_add_u64 v[36:37], v[4:5], 3, s[4:5]
	v_add_co_u32_e32 v36, vcc, s0, v36
	s_movk_i32 s3, 0x3000
	s_nop 0
	v_addc_co_u32_e32 v37, vcc, 0, v37, vcc
	global_load_dwordx4 v[42:45], v[36:37], off offset:2048
	ds_read_b32 v4, v1 offset:10368
	ds_read_b32 v36, v1 offset:9072
	;; [unrolled: 1-line block ×5, first 2 shown]
	v_add_co_u32_e32 v32, vcc, s0, v32
	s_movk_i32 s1, 0x5000
	s_nop 0
	v_addc_co_u32_e32 v33, vcc, 0, v33, vcc
	global_load_dwordx4 v[46:49], v[32:33], off offset:2048
	ds_read_b32 v32, v1 offset:11664
	ds_read_b32 v7, v34
	ds_read_b32 v13, v17
	s_movk_i32 s4, 0xa20
	s_waitcnt vmcnt(2) lgkmcnt(3)
	v_pk_mul_f32 v[34:35], v[38:39], v[54:55] op_sel_hi:[1,0]
	v_pk_mul_f32 v[54:55], v[40:41], v[4:5] op_sel_hi:[1,0]
	v_pk_fma_f32 v[56:57], v[30:31], v[38:39], v[34:35] op_sel:[0,0,1] op_sel_hi:[1,1,0] neg_lo:[0,0,1] neg_hi:[0,0,1]
	v_pk_fma_f32 v[30:31], v[30:31], v[38:39], v[34:35] op_sel:[0,0,1] op_sel_hi:[0,1,0]
	v_pk_fma_f32 v[34:35], v[28:29], v[40:41], v[54:55] op_sel:[0,0,1] op_sel_hi:[1,1,0] neg_lo:[0,0,1] neg_hi:[0,0,1]
	v_pk_fma_f32 v[28:29], v[28:29], v[40:41], v[54:55] op_sel:[0,0,1] op_sel_hi:[0,1,0]
	ds_read_b32 v28, v1 offset:14256
	ds_read_b32 v30, v1 offset:12960
	;; [unrolled: 1-line block ×3, first 2 shown]
	ds_read_b32 v21, v1
	v_mov_b32_e32 v1, v5
	v_lshl_add_u64 v[38:39], v[0:1], 3, v[2:3]
	v_mov_b32_e32 v57, v31
	v_mov_b32_e32 v35, v29
	s_waitcnt vmcnt(1)
	v_pk_mul_f32 v[40:41], v[42:43], v[52:53] op_sel_hi:[1,0]
	s_waitcnt lgkmcnt(6)
	v_pk_mul_f32 v[32:33], v[44:45], v[32:33] op_sel_hi:[1,0]
	v_pk_fma_f32 v[52:53], v[26:27], v[42:43], v[40:41] op_sel:[0,0,1] op_sel_hi:[1,1,0] neg_lo:[0,0,1] neg_hi:[0,0,1]
	v_pk_fma_f32 v[26:27], v[26:27], v[42:43], v[40:41] op_sel:[0,0,1] op_sel_hi:[0,1,0]
	v_add_co_u32_e32 v42, vcc, s0, v38
	v_pk_fma_f32 v[40:41], v[24:25], v[44:45], v[32:33] op_sel:[0,0,1] op_sel_hi:[1,1,0] neg_lo:[0,0,1] neg_hi:[0,0,1]
	s_nop 0
	v_addc_co_u32_e32 v43, vcc, 0, v39, vcc
	v_add_co_u32_e32 v22, vcc, s0, v22
	v_pk_fma_f32 v[32:33], v[24:25], v[44:45], v[32:33] op_sel:[0,0,1] op_sel_hi:[0,1,0]
	s_nop 0
	v_addc_co_u32_e32 v23, vcc, 0, v23, vcc
	global_load_dwordx4 v[22:25], v[22:23], off offset:2048
	s_waitcnt lgkmcnt(0)
	v_pk_add_f32 v[54:55], v[20:21], v[56:57]
	v_pk_add_f32 v[58:59], v[56:57], v[34:35]
	v_pk_add_f32 v[56:57], v[56:57], v[34:35] neg_lo:[0,1] neg_hi:[0,1]
	v_pk_add_f32 v[34:35], v[54:55], v[34:35]
	v_pk_fma_f32 v[20:21], v[58:59], 0.5, v[20:21] op_sel_hi:[1,0,1] neg_lo:[1,0,0] neg_hi:[1,0,0]
	v_pk_mul_f32 v[54:55], v[56:57], s[2:3] op_sel_hi:[1,0]
	global_store_dwordx2 v[38:39], v[34:35], off
	v_pk_add_f32 v[34:35], v[20:21], v[54:55] op_sel:[0,1] op_sel_hi:[1,0]
	v_pk_add_f32 v[20:21], v[20:21], v[54:55] op_sel:[0,1] op_sel_hi:[1,0] neg_lo:[0,1] neg_hi:[0,1]
	v_mov_b32_e32 v53, v27
	v_mov_b32_e32 v41, v33
	v_add_co_u32_e32 v44, vcc, s1, v38
	v_mov_b32_e32 v26, v34
	v_mov_b32_e32 v27, v21
	;; [unrolled: 1-line block ×3, first 2 shown]
	v_pk_add_f32 v[32:33], v[18:19], v[52:53]
	v_pk_add_f32 v[34:35], v[52:53], v[40:41]
	v_pk_add_f32 v[52:53], v[52:53], v[40:41] neg_lo:[0,1] neg_hi:[0,1]
	v_addc_co_u32_e32 v45, vcc, 0, v39, vcc
	global_store_dwordx2 v[42:43], v[26:27], off offset:2176
	global_store_dwordx2 v[44:45], v[20:21], off offset:256
	v_pk_add_f32 v[20:21], v[32:33], v[40:41]
	v_pk_fma_f32 v[18:19], v[34:35], 0.5, v[18:19] op_sel_hi:[1,0,1] neg_lo:[1,0,0] neg_hi:[1,0,0]
	v_pk_mul_f32 v[26:27], v[52:53], s[2:3] op_sel_hi:[1,0]
	global_store_dwordx2 v[38:39], v[20:21], off offset:2592
	v_pk_add_f32 v[20:21], v[18:19], v[26:27] op_sel:[0,1] op_sel_hi:[1,0]
	v_pk_add_f32 v[18:19], v[18:19], v[26:27] op_sel:[0,1] op_sel_hi:[1,0] neg_lo:[0,1] neg_hi:[0,1]
	v_add_co_u32_e32 v32, vcc, s3, v38
	v_mov_b32_e32 v26, v20
	v_mov_b32_e32 v27, v19
	v_addc_co_u32_e32 v33, vcc, 0, v39, vcc
	v_mov_b32_e32 v19, v21
	s_waitcnt vmcnt(5)
	v_pk_mul_f32 v[20:21], v[46:47], v[50:51] op_sel_hi:[1,0]
	global_store_dwordx2 v[32:33], v[26:27], off offset:672
	v_add_u32_e32 v1, 0x288, v0
	s_mov_b32 s3, 0xca4587e7
	v_pk_fma_f32 v[26:27], v[14:15], v[46:47], v[20:21] op_sel:[0,0,1] op_sel_hi:[1,1,0] neg_lo:[0,0,1] neg_hi:[0,0,1]
	v_pk_fma_f32 v[14:15], v[14:15], v[46:47], v[20:21] op_sel:[0,0,1] op_sel_hi:[0,1,0]
	v_mul_hi_u32 v4, v1, s3
	v_mov_b32_e32 v27, v15
	v_pk_mul_f32 v[14:15], v[48:49], v[30:31] op_sel_hi:[1,0]
	v_lshrrev_b32_e32 v4, 10, v4
	v_pk_fma_f32 v[20:21], v[16:17], v[48:49], v[14:15] op_sel:[0,0,1] op_sel_hi:[1,1,0] neg_lo:[0,0,1] neg_hi:[0,0,1]
	v_pk_fma_f32 v[14:15], v[16:17], v[48:49], v[14:15] op_sel:[0,0,1] op_sel_hi:[0,1,0]
	v_add_u32_e32 v0, 0x3cc, v0
	v_mad_u32_u24 v4, v4, s4, v1
	v_mov_b32_e32 v21, v15
	v_pk_add_f32 v[14:15], v[12:13], v[26:27]
	v_mul_hi_u32 v1, v0, s3
	global_store_dwordx2 v[44:45], v[18:19], off offset:2848
	v_lshl_add_u64 v[18:19], v[4:5], 3, v[2:3]
	v_pk_add_f32 v[14:15], v[14:15], v[20:21]
	v_lshrrev_b32_e32 v1, 10, v1
	global_store_dwordx2 v[18:19], v[14:15], off
	v_pk_add_f32 v[14:15], v[26:27], v[20:21]
	v_mad_u32_u24 v4, v1, s4, v0
	v_pk_fma_f32 v[12:13], v[14:15], 0.5, v[12:13] op_sel_hi:[1,0,1] neg_lo:[1,0,0] neg_hi:[1,0,0]
	v_pk_add_f32 v[14:15], v[26:27], v[20:21] neg_lo:[0,1] neg_hi:[0,1]
	v_lshl_add_u64 v[0:1], v[4:5], 3, v[2:3]
	v_pk_mul_f32 v[14:15], v[14:15], s[2:3] op_sel_hi:[1,0]
	v_add_co_u32_e32 v20, vcc, s0, v18
	v_pk_add_f32 v[16:17], v[12:13], v[14:15] op_sel:[0,1] op_sel_hi:[1,0]
	v_pk_add_f32 v[12:13], v[12:13], v[14:15] op_sel:[0,1] op_sel_hi:[1,0] neg_lo:[0,1] neg_hi:[0,1]
	v_mov_b32_e32 v14, v16
	v_mov_b32_e32 v15, v13
	v_addc_co_u32_e32 v21, vcc, 0, v19, vcc
	global_store_dwordx2 v[20:21], v[14:15], off offset:2176
	v_add_co_u32_e32 v14, vcc, s1, v18
	v_mov_b32_e32 v13, v17
	s_nop 0
	v_addc_co_u32_e32 v15, vcc, 0, v19, vcc
	global_store_dwordx2 v[14:15], v[12:13], off offset:256
	s_waitcnt vmcnt(9)
	v_pk_mul_f32 v[2:3], v[22:23], v[36:37] op_sel_hi:[1,0]
	s_nop 0
	v_pk_fma_f32 v[4:5], v[10:11], v[22:23], v[2:3] op_sel:[0,0,1] op_sel_hi:[1,1,0] neg_lo:[0,0,1] neg_hi:[0,0,1]
	v_pk_fma_f32 v[2:3], v[10:11], v[22:23], v[2:3] op_sel:[0,0,1] op_sel_hi:[0,1,0]
	v_mov_b32_e32 v5, v3
	v_pk_mul_f32 v[2:3], v[24:25], v[28:29] op_sel_hi:[1,0]
	s_nop 0
	v_pk_fma_f32 v[10:11], v[8:9], v[24:25], v[2:3] op_sel:[0,0,1] op_sel_hi:[1,1,0] neg_lo:[0,0,1] neg_hi:[0,0,1]
	v_pk_fma_f32 v[2:3], v[8:9], v[24:25], v[2:3] op_sel:[0,0,1] op_sel_hi:[0,1,0]
	v_mov_b32_e32 v11, v3
	v_pk_add_f32 v[2:3], v[6:7], v[4:5]
	v_add_co_u32_e32 v8, vcc, 0x2000, v0
	v_pk_add_f32 v[2:3], v[2:3], v[10:11]
	global_store_dwordx2 v[0:1], v[2:3], off
	v_pk_add_f32 v[2:3], v[4:5], v[10:11]
	v_pk_add_f32 v[4:5], v[4:5], v[10:11] neg_lo:[0,1] neg_hi:[0,1]
	v_pk_fma_f32 v[2:3], v[2:3], 0.5, v[6:7] op_sel_hi:[1,0,1] neg_lo:[1,0,0] neg_hi:[1,0,0]
	v_pk_mul_f32 v[4:5], v[4:5], s[2:3] op_sel_hi:[1,0]
	v_addc_co_u32_e32 v9, vcc, 0, v1, vcc
	v_pk_add_f32 v[6:7], v[2:3], v[4:5] op_sel:[0,1] op_sel_hi:[1,0]
	v_pk_add_f32 v[2:3], v[2:3], v[4:5] op_sel:[0,1] op_sel_hi:[1,0] neg_lo:[0,1] neg_hi:[0,1]
	v_add_co_u32_e32 v0, vcc, 0x5000, v0
	v_mov_b32_e32 v4, v6
	v_mov_b32_e32 v5, v3
	;; [unrolled: 1-line block ×3, first 2 shown]
	v_addc_co_u32_e32 v1, vcc, 0, v1, vcc
	global_store_dwordx2 v[8:9], v[4:5], off offset:2176
	global_store_dwordx2 v[0:1], v[2:3], off offset:256
.LBB0_17:
	s_endpgm
	.section	.rodata,"a",@progbits
	.p2align	6, 0x0
	.amdhsa_kernel fft_rtc_fwd_len3888_factors_16_3_3_3_3_3_wgs_324_tpt_324_halfLds_sp_ip_CI_unitstride_sbrr_dirReg
		.amdhsa_group_segment_fixed_size 0
		.amdhsa_private_segment_fixed_size 0
		.amdhsa_kernarg_size 88
		.amdhsa_user_sgpr_count 2
		.amdhsa_user_sgpr_dispatch_ptr 0
		.amdhsa_user_sgpr_queue_ptr 0
		.amdhsa_user_sgpr_kernarg_segment_ptr 1
		.amdhsa_user_sgpr_dispatch_id 0
		.amdhsa_user_sgpr_kernarg_preload_length 0
		.amdhsa_user_sgpr_kernarg_preload_offset 0
		.amdhsa_user_sgpr_private_segment_size 0
		.amdhsa_uses_dynamic_stack 0
		.amdhsa_enable_private_segment 0
		.amdhsa_system_sgpr_workgroup_id_x 1
		.amdhsa_system_sgpr_workgroup_id_y 0
		.amdhsa_system_sgpr_workgroup_id_z 0
		.amdhsa_system_sgpr_workgroup_info 0
		.amdhsa_system_vgpr_workitem_id 0
		.amdhsa_next_free_vgpr 62
		.amdhsa_next_free_sgpr 22
		.amdhsa_accum_offset 64
		.amdhsa_reserve_vcc 1
		.amdhsa_float_round_mode_32 0
		.amdhsa_float_round_mode_16_64 0
		.amdhsa_float_denorm_mode_32 3
		.amdhsa_float_denorm_mode_16_64 3
		.amdhsa_dx10_clamp 1
		.amdhsa_ieee_mode 1
		.amdhsa_fp16_overflow 0
		.amdhsa_tg_split 0
		.amdhsa_exception_fp_ieee_invalid_op 0
		.amdhsa_exception_fp_denorm_src 0
		.amdhsa_exception_fp_ieee_div_zero 0
		.amdhsa_exception_fp_ieee_overflow 0
		.amdhsa_exception_fp_ieee_underflow 0
		.amdhsa_exception_fp_ieee_inexact 0
		.amdhsa_exception_int_div_zero 0
	.end_amdhsa_kernel
	.text
.Lfunc_end0:
	.size	fft_rtc_fwd_len3888_factors_16_3_3_3_3_3_wgs_324_tpt_324_halfLds_sp_ip_CI_unitstride_sbrr_dirReg, .Lfunc_end0-fft_rtc_fwd_len3888_factors_16_3_3_3_3_3_wgs_324_tpt_324_halfLds_sp_ip_CI_unitstride_sbrr_dirReg
                                        ; -- End function
	.section	.AMDGPU.csdata,"",@progbits
; Kernel info:
; codeLenInByte = 8196
; NumSgprs: 28
; NumVgprs: 62
; NumAgprs: 0
; TotalNumVgprs: 62
; ScratchSize: 0
; MemoryBound: 0
; FloatMode: 240
; IeeeMode: 1
; LDSByteSize: 0 bytes/workgroup (compile time only)
; SGPRBlocks: 3
; VGPRBlocks: 7
; NumSGPRsForWavesPerEU: 28
; NumVGPRsForWavesPerEU: 62
; AccumOffset: 64
; Occupancy: 8
; WaveLimiterHint : 1
; COMPUTE_PGM_RSRC2:SCRATCH_EN: 0
; COMPUTE_PGM_RSRC2:USER_SGPR: 2
; COMPUTE_PGM_RSRC2:TRAP_HANDLER: 0
; COMPUTE_PGM_RSRC2:TGID_X_EN: 1
; COMPUTE_PGM_RSRC2:TGID_Y_EN: 0
; COMPUTE_PGM_RSRC2:TGID_Z_EN: 0
; COMPUTE_PGM_RSRC2:TIDIG_COMP_CNT: 0
; COMPUTE_PGM_RSRC3_GFX90A:ACCUM_OFFSET: 15
; COMPUTE_PGM_RSRC3_GFX90A:TG_SPLIT: 0
	.text
	.p2alignl 6, 3212836864
	.fill 256, 4, 3212836864
	.type	__hip_cuid_781b31cd4505d0f7,@object ; @__hip_cuid_781b31cd4505d0f7
	.section	.bss,"aw",@nobits
	.globl	__hip_cuid_781b31cd4505d0f7
__hip_cuid_781b31cd4505d0f7:
	.byte	0                               ; 0x0
	.size	__hip_cuid_781b31cd4505d0f7, 1

	.ident	"AMD clang version 19.0.0git (https://github.com/RadeonOpenCompute/llvm-project roc-6.4.0 25133 c7fe45cf4b819c5991fe208aaa96edf142730f1d)"
	.section	".note.GNU-stack","",@progbits
	.addrsig
	.addrsig_sym __hip_cuid_781b31cd4505d0f7
	.amdgpu_metadata
---
amdhsa.kernels:
  - .agpr_count:     0
    .args:
      - .actual_access:  read_only
        .address_space:  global
        .offset:         0
        .size:           8
        .value_kind:     global_buffer
      - .offset:         8
        .size:           8
        .value_kind:     by_value
      - .actual_access:  read_only
        .address_space:  global
        .offset:         16
        .size:           8
        .value_kind:     global_buffer
      - .actual_access:  read_only
        .address_space:  global
        .offset:         24
        .size:           8
        .value_kind:     global_buffer
      - .offset:         32
        .size:           8
        .value_kind:     by_value
      - .actual_access:  read_only
        .address_space:  global
        .offset:         40
        .size:           8
        .value_kind:     global_buffer
      - .actual_access:  read_only
        .address_space:  global
        .offset:         48
        .size:           8
        .value_kind:     global_buffer
      - .offset:         56
        .size:           4
        .value_kind:     by_value
      - .actual_access:  read_only
        .address_space:  global
        .offset:         64
        .size:           8
        .value_kind:     global_buffer
      - .actual_access:  read_only
        .address_space:  global
        .offset:         72
        .size:           8
        .value_kind:     global_buffer
      - .address_space:  global
        .offset:         80
        .size:           8
        .value_kind:     global_buffer
    .group_segment_fixed_size: 0
    .kernarg_segment_align: 8
    .kernarg_segment_size: 88
    .language:       OpenCL C
    .language_version:
      - 2
      - 0
    .max_flat_workgroup_size: 324
    .name:           fft_rtc_fwd_len3888_factors_16_3_3_3_3_3_wgs_324_tpt_324_halfLds_sp_ip_CI_unitstride_sbrr_dirReg
    .private_segment_fixed_size: 0
    .sgpr_count:     28
    .sgpr_spill_count: 0
    .symbol:         fft_rtc_fwd_len3888_factors_16_3_3_3_3_3_wgs_324_tpt_324_halfLds_sp_ip_CI_unitstride_sbrr_dirReg.kd
    .uniform_work_group_size: 1
    .uses_dynamic_stack: false
    .vgpr_count:     62
    .vgpr_spill_count: 0
    .wavefront_size: 64
amdhsa.target:   amdgcn-amd-amdhsa--gfx950
amdhsa.version:
  - 1
  - 2
...

	.end_amdgpu_metadata
